;; amdgpu-corpus repo=LLNL/RAJAPerf kind=compiled arch=gfx906 opt=O3
	.amdgcn_target "amdgcn-amd-amdhsa--gfx906"
	.amdhsa_code_object_version 6
	.section	.text._ZN8rajaperf4apps8Mass3DPAILm25EEEvPdS2_S2_S2_S2_,"axG",@progbits,_ZN8rajaperf4apps8Mass3DPAILm25EEEvPdS2_S2_S2_S2_,comdat
	.protected	_ZN8rajaperf4apps8Mass3DPAILm25EEEvPdS2_S2_S2_S2_ ; -- Begin function _ZN8rajaperf4apps8Mass3DPAILm25EEEvPdS2_S2_S2_S2_
	.globl	_ZN8rajaperf4apps8Mass3DPAILm25EEEvPdS2_S2_S2_S2_
	.p2align	8
	.type	_ZN8rajaperf4apps8Mass3DPAILm25EEEvPdS2_S2_S2_S2_,@function
_ZN8rajaperf4apps8Mass3DPAILm25EEEvPdS2_S2_S2_S2_: ; @_ZN8rajaperf4apps8Mass3DPAILm25EEEvPdS2_S2_S2_S2_
; %bb.0:
	s_load_dwordx8 s[8:15], s[4:5], 0x0
	s_load_dwordx2 s[16:17], s[4:5], 0x20
	s_mov_b32 s7, 0
	v_cmp_gt_u32_e32 vcc, 4, v1
	s_and_saveexec_b64 s[2:3], vcc
	s_cbranch_execz .LBB0_5
; %bb.1:
	v_cmp_gt_u32_e64 s[0:1], 4, v0
	s_and_saveexec_b64 s[4:5], s[0:1]
	s_cbranch_execz .LBB0_3
; %bb.2:
	s_lshl_b64 s[0:1], s[6:7], 9
	s_waitcnt lgkmcnt(0)
	s_add_u32 s0, s14, s0
	s_addc_u32 s1, s15, s1
	v_lshlrev_b32_e32 v12, 5, v1
	v_mov_b32_e32 v2, s1
	v_add_co_u32_e64 v3, s[0:1], s0, v12
	v_addc_co_u32_e64 v4, s[0:1], 0, v2, s[0:1]
	v_lshlrev_b32_e32 v13, 3, v0
	v_add_co_u32_e64 v2, s[0:1], v3, v13
	v_addc_co_u32_e64 v3, s[0:1], 0, v4, s[0:1]
	global_load_dwordx2 v[4:5], v[2:3], off
	global_load_dwordx2 v[6:7], v[2:3], off offset:128
	global_load_dwordx2 v[8:9], v[2:3], off offset:256
	;; [unrolled: 1-line block ×3, first 2 shown]
	v_add_u32_e32 v2, v12, v13
	s_waitcnt vmcnt(2)
	ds_write2_b64 v2, v[4:5], v[6:7] offset1:16
	s_waitcnt vmcnt(0)
	ds_write2_b64 v2, v[8:9], v[10:11] offset0:32 offset1:48
.LBB0_3:
	s_or_b64 exec, exec, s[4:5]
	v_cmp_gt_u32_e64 s[0:1], 5, v0
	s_and_saveexec_b64 s[4:5], s[0:1]
	s_xor_b64 s[4:5], exec, s[4:5]
	s_cbranch_execz .LBB0_5
; %bb.4:
	s_waitcnt lgkmcnt(0)
	v_mov_b32_e32 v2, s8
	v_mov_b32_e32 v3, s9
	v_mad_u64_u32 v[2:3], s[0:1], v1, 40, v[2:3]
	v_lshlrev_b32_e32 v4, 3, v0
	v_add_co_u32_e64 v2, s[0:1], v2, v4
	v_addc_co_u32_e64 v3, s[0:1], 0, v3, s[0:1]
	global_load_dwordx2 v[2:3], v[2:3], off
	v_lshlrev_b32_e32 v4, 5, v0
	v_lshl_add_u32 v4, v1, 3, v4
	s_waitcnt vmcnt(0)
	ds_write_b64 v4, v[2:3] offset:2016
.LBB0_5:
	s_or_b64 exec, exec, s[2:3]
	s_waitcnt lgkmcnt(0)
	; wave barrier
	s_and_saveexec_b64 s[2:3], vcc
	s_cbranch_execz .LBB0_8
; %bb.6:
	v_cmp_gt_u32_e64 s[0:1], 5, v0
	s_and_b64 exec, exec, s[0:1]
	s_cbranch_execz .LBB0_8
; %bb.7:
	v_lshlrev_b32_e32 v36, 5, v1
	v_lshlrev_b32_e32 v14, 5, v0
	ds_read_b128 v[2:5], v36
	ds_read_b128 v[6:9], v14 offset:2016
	ds_read_b128 v[10:13], v36 offset:128
	;; [unrolled: 1-line block ×6, first 2 shown]
	s_waitcnt lgkmcnt(4)
	v_fma_f64 v[10:11], v[10:11], v[6:7], 0
	v_fma_f64 v[2:3], v[2:3], v[6:7], 0
	;; [unrolled: 1-line block ×3, first 2 shown]
	s_waitcnt lgkmcnt(0)
	v_fma_f64 v[10:11], v[26:27], v[6:7], 0
	v_fma_f64 v[30:31], v[4:5], v[8:9], v[2:3]
	ds_read_b128 v[2:5], v36 offset:272
	v_fma_f64 v[34:35], v[28:29], v[8:9], v[10:11]
	ds_read_b128 v[10:13], v36 offset:384
	ds_read_b128 v[26:29], v36 offset:400
	s_waitcnt lgkmcnt(1)
	v_fma_f64 v[6:7], v[10:11], v[6:7], 0
	v_fma_f64 v[10:11], v[22:23], v[14:15], v[32:33]
	;; [unrolled: 1-line block ×7, first 2 shown]
	s_waitcnt lgkmcnt(0)
	v_fma_f64 v[6:7], v[26:27], v[14:15], v[6:7]
	v_fma_f64 v[8:9], v[20:21], v[16:17], v[8:9]
	;; [unrolled: 1-line block ×3, first 2 shown]
	v_lshlrev_b32_e32 v6, 3, v0
	v_mad_u32_u24 v6, v1, 40, v6
	ds_write2_b64 v6, v[8:9], v[10:11] offset0:126 offset1:146
	ds_write2_b64 v6, v[2:3], v[4:5] offset0:166 offset1:186
.LBB0_8:
	s_or_b64 exec, exec, s[2:3]
	v_cmp_gt_u32_e64 s[0:1], 5, v1
	s_waitcnt lgkmcnt(0)
	; wave barrier
	s_and_saveexec_b64 s[4:5], s[0:1]
	s_cbranch_execz .LBB0_11
; %bb.9:
	v_cmp_gt_u32_e64 s[2:3], 5, v0
	s_and_b64 exec, exec, s[2:3]
	s_cbranch_execz .LBB0_11
; %bb.10:
	v_lshlrev_b32_e32 v10, 5, v1
	v_lshlrev_b32_e32 v30, 3, v0
	ds_read2_b64 v[2:5], v30 offset0:126 offset1:131
	ds_read_b128 v[6:9], v10 offset:2016
	ds_read_b128 v[10:13], v10 offset:2032
	ds_read2_b64 v[14:17], v30 offset0:146 offset1:151
	ds_read2_b64 v[18:21], v30 offset0:166 offset1:171
	;; [unrolled: 1-line block ×3, first 2 shown]
	s_waitcnt lgkmcnt(4)
	v_fma_f64 v[2:3], v[2:3], v[6:7], 0
	s_waitcnt lgkmcnt(2)
	v_fma_f64 v[14:15], v[14:15], v[6:7], 0
	;; [unrolled: 2-line block ×4, first 2 shown]
	v_fma_f64 v[22:23], v[4:5], v[8:9], v[2:3]
	ds_read2_b64 v[2:5], v30 offset0:136 offset1:141
	v_fma_f64 v[26:27], v[16:17], v[8:9], v[14:15]
	v_fma_f64 v[28:29], v[20:21], v[8:9], v[18:19]
	;; [unrolled: 1-line block ×3, first 2 shown]
	ds_read2_b64 v[6:9], v30 offset0:156 offset1:161
	ds_read2_b64 v[14:17], v30 offset0:176 offset1:181
	;; [unrolled: 1-line block ×3, first 2 shown]
	s_waitcnt lgkmcnt(3)
	v_fma_f64 v[2:3], v[2:3], v[10:11], v[22:23]
	s_waitcnt lgkmcnt(2)
	v_fma_f64 v[6:7], v[6:7], v[10:11], v[26:27]
	;; [unrolled: 2-line block ×4, first 2 shown]
	v_fma_f64 v[2:3], v[4:5], v[12:13], v[2:3]
	v_fma_f64 v[4:5], v[8:9], v[12:13], v[6:7]
	;; [unrolled: 1-line block ×4, first 2 shown]
	v_mad_u32_u24 v10, v1, 40, v30
	ds_write2_b64 v10, v[2:3], v[4:5] offset1:25
	ds_write2_b64 v10, v[6:7], v[8:9] offset0:50 offset1:75
.LBB0_11:
	s_or_b64 exec, exec, s[4:5]
	s_waitcnt lgkmcnt(0)
	; wave barrier
	s_and_saveexec_b64 s[4:5], s[0:1]
	s_cbranch_execz .LBB0_14
; %bb.12:
	v_cmp_gt_u32_e64 s[2:3], 5, v0
	s_and_b64 exec, exec, s[2:3]
	s_cbranch_execz .LBB0_14
; %bb.13:
	v_lshlrev_b32_e32 v38, 3, v0
	v_mad_u32_u24 v39, v1, 40, v38
	ds_read2_b64 v[2:5], v39 offset1:25
	v_mov_b32_e32 v26, 0
	ds_read_b128 v[6:9], v26 offset:2016
	ds_read_b128 v[10:13], v26 offset:2032
	;; [unrolled: 1-line block ×5, first 2 shown]
	s_mul_i32 s2, s6, 0x3e8
	s_mul_hi_u32 s3, s6, 0x3e8
	s_waitcnt lgkmcnt(4)
	v_fma_f64 v[6:7], v[2:3], v[6:7], 0
	s_waitcnt lgkmcnt(2)
	v_fma_f64 v[14:15], v[2:3], v[14:15], 0
	;; [unrolled: 2-line block ×3, first 2 shown]
	s_add_u32 s2, s12, s2
	s_addc_u32 s3, s13, s3
	v_fma_f64 v[30:31], v[4:5], v[8:9], v[6:7]
	ds_read_b128 v[6:9], v26 offset:2096
	v_fma_f64 v[32:33], v[4:5], v[16:17], v[14:15]
	ds_read_b128 v[14:17], v26 offset:2112
	;; [unrolled: 2-line block ×3, first 2 shown]
	s_waitcnt lgkmcnt(1)
	v_fma_f64 v[14:15], v[2:3], v[14:15], 0
	v_fma_f64 v[36:37], v[4:5], v[16:17], v[14:15]
	ds_read_b128 v[14:17], v26 offset:2144
	ds_read_b128 v[26:29], v26 offset:2160
	s_waitcnt lgkmcnt(1)
	v_fma_f64 v[2:3], v[2:3], v[14:15], 0
	v_fma_f64 v[14:15], v[4:5], v[16:17], v[2:3]
	ds_read2_b64 v[2:5], v39 offset0:50 offset1:75
	v_mad_u64_u32 v[16:17], s[2:3], v1, 40, s[2:3]
	s_waitcnt lgkmcnt(0)
	v_fma_f64 v[10:11], v[2:3], v[10:11], v[30:31]
	v_fma_f64 v[6:7], v[2:3], v[6:7], v[34:35]
	;; [unrolled: 1-line block ×5, first 2 shown]
	v_add_co_u32_e64 v8, s[2:3], v16, v38
	v_addc_co_u32_e64 v9, s[2:3], 0, v17, s[2:3]
	v_fma_f64 v[12:13], v[4:5], v[24:25], v[12:13]
	global_load_dwordx2 v[16:17], v[8:9], off
	global_load_dwordx2 v[22:23], v[8:9], off offset:200
	global_load_dwordx2 v[24:25], v[8:9], off offset:400
	global_load_dwordx2 v[30:31], v[8:9], off offset:600
	global_load_dwordx2 v[32:33], v[8:9], off offset:800
	v_fma_f64 v[8:9], v[2:3], v[18:19], v[36:37]
	v_fma_f64 v[2:3], v[2:3], v[26:27], v[14:15]
	;; [unrolled: 1-line block ×4, first 2 shown]
	s_waitcnt vmcnt(4)
	v_mul_f64 v[4:5], v[10:11], v[16:17]
	s_waitcnt vmcnt(3)
	v_mul_f64 v[10:11], v[12:13], v[22:23]
	s_waitcnt vmcnt(2)
	v_mul_f64 v[6:7], v[6:7], v[24:25]
	s_waitcnt vmcnt(1)
	v_mul_f64 v[8:9], v[8:9], v[30:31]
	s_waitcnt vmcnt(0)
	v_mul_f64 v[2:3], v[2:3], v[32:33]
	ds_write2_b64 v39, v[4:5], v[10:11] offset0:126 offset1:151
	ds_write2_b64 v39, v[6:7], v[8:9] offset0:176 offset1:201
	ds_write_b64 v39, v[2:3] offset:1808
.LBB0_14:
	s_or_b64 exec, exec, s[4:5]
	s_waitcnt lgkmcnt(0)
	; wave barrier
	s_and_saveexec_b64 s[4:5], vcc
	s_cbranch_execz .LBB0_17
; %bb.15:
	v_cmp_gt_u32_e64 s[2:3], 5, v0
	s_and_b64 exec, exec, s[2:3]
	s_cbranch_execz .LBB0_17
; %bb.16:
	v_lshlrev_b32_e32 v2, 5, v1
	v_mov_b32_e32 v3, s11
	v_add_co_u32_e64 v2, s[2:3], s10, v2
	v_addc_co_u32_e64 v3, s[2:3], 0, v3, s[2:3]
	v_lshlrev_b32_e32 v4, 3, v0
	v_add_co_u32_e64 v2, s[2:3], v2, v4
	v_addc_co_u32_e64 v3, s[2:3], 0, v3, s[2:3]
	global_load_dwordx2 v[2:3], v[2:3], off
	v_mad_u32_u24 v4, v1, 40, v4
	s_waitcnt vmcnt(0)
	ds_write_b64 v4, v[2:3] offset:2016
.LBB0_17:
	s_or_b64 exec, exec, s[4:5]
	s_waitcnt lgkmcnt(0)
	; wave barrier
	s_and_saveexec_b64 s[2:3], s[0:1]
	s_cbranch_execz .LBB0_20
; %bb.18:
	v_cmp_gt_u32_e64 s[0:1], 4, v0
	s_and_b64 exec, exec, s[0:1]
	s_cbranch_execz .LBB0_20
; %bb.19:
	v_mul_u32_u24_e32 v43, 40, v0
	v_mul_u32_u24_e32 v42, 40, v1
	ds_read2_b64 v[2:5], v43 offset0:252 offset1:253
	ds_read2_b64 v[6:9], v42 offset0:126 offset1:127
	;; [unrolled: 1-line block ×4, first 2 shown]
	ds_read_b64 v[34:35], v42 offset:1840
	ds_read2_b64 v[18:21], v42 offset0:153 offset1:154
	s_waitcnt lgkmcnt(4)
	v_fma_f64 v[6:7], v[6:7], v[2:3], 0
	s_waitcnt lgkmcnt(3)
	v_fma_f64 v[10:11], v[10:11], v[2:3], 0
	ds_read2_b64 v[22:25], v42 offset0:176 offset1:177
	ds_read2_b64 v[26:29], v42 offset0:201 offset1:202
	;; [unrolled: 1-line block ×3, first 2 shown]
	s_waitcnt lgkmcnt(2)
	v_fma_f64 v[22:23], v[22:23], v[2:3], 0
	s_waitcnt lgkmcnt(1)
	v_fma_f64 v[26:27], v[26:27], v[2:3], 0
	v_fma_f64 v[36:37], v[8:9], v[4:5], v[6:7]
	;; [unrolled: 1-line block ×3, first 2 shown]
	ds_read2_b64 v[6:9], v42 offset0:203 offset1:204
	ds_read2_b64 v[10:13], v42 offset0:226 offset1:227
	v_fma_f64 v[40:41], v[24:25], v[4:5], v[22:23]
	v_fma_f64 v[26:27], v[28:29], v[4:5], v[26:27]
	ds_read2_b64 v[22:25], v42 offset0:228 offset1:229
	s_waitcnt lgkmcnt(1)
	v_fma_f64 v[2:3], v[10:11], v[2:3], 0
	v_fma_f64 v[10:11], v[12:13], v[4:5], v[2:3]
	ds_read2_b64 v[2:5], v43 offset0:254 offset1:255
	ds_read_b64 v[12:13], v43 offset:2048
	s_waitcnt lgkmcnt(1)
	v_fma_f64 v[14:15], v[14:15], v[2:3], v[36:37]
	v_fma_f64 v[18:19], v[18:19], v[2:3], v[38:39]
	;; [unrolled: 1-line block ×10, first 2 shown]
	ds_read2_b64 v[6:9], v42 offset0:130 offset1:155
	ds_read2_b64 v[2:5], v42 offset0:180 offset1:205
	s_waitcnt lgkmcnt(1)
	v_fma_f64 v[6:7], v[6:7], v[12:13], v[10:11]
	v_fma_f64 v[8:9], v[8:9], v[12:13], v[14:15]
	s_waitcnt lgkmcnt(0)
	v_fma_f64 v[2:3], v[2:3], v[12:13], v[16:17]
	v_fma_f64 v[4:5], v[4:5], v[12:13], v[18:19]
	;; [unrolled: 1-line block ×3, first 2 shown]
	v_lshlrev_b32_e32 v12, 3, v0
	v_lshl_add_u32 v12, v1, 5, v12
	ds_write2_b64 v12, v[6:7], v[8:9] offset1:20
	ds_write2_b64 v12, v[2:3], v[4:5] offset0:40 offset1:60
	ds_write_b64 v12, v[10:11] offset:640
.LBB0_20:
	s_or_b64 exec, exec, s[2:3]
	s_waitcnt lgkmcnt(0)
	; wave barrier
	s_and_saveexec_b64 s[2:3], vcc
	s_cbranch_execz .LBB0_23
; %bb.21:
	v_cmp_gt_u32_e64 s[0:1], 4, v0
	s_and_b64 exec, exec, s[0:1]
	s_cbranch_execz .LBB0_23
; %bb.22:
	v_mul_u32_u24_e32 v36, 40, v1
	v_lshlrev_b32_e32 v37, 3, v0
	ds_read2_b64 v[2:5], v36 offset0:252 offset1:253
	ds_read2_b64 v[6:9], v37 offset1:4
	ds_read2_b64 v[10:13], v37 offset0:40 offset1:44
	ds_read2_b64 v[14:17], v36 offset0:254 offset1:255
	;; [unrolled: 1-line block ×5, first 2 shown]
	s_waitcnt lgkmcnt(5)
	v_fma_f64 v[6:7], v[6:7], v[2:3], 0
	s_waitcnt lgkmcnt(4)
	v_fma_f64 v[10:11], v[10:11], v[2:3], 0
	;; [unrolled: 2-line block ×4, first 2 shown]
	ds_read2_b64 v[20:23], v37 offset0:24 offset1:28
	s_waitcnt lgkmcnt(1)
	v_fma_f64 v[2:3], v[28:29], v[2:3], 0
	v_fma_f64 v[34:35], v[8:9], v[4:5], v[6:7]
	ds_read2_b64 v[6:9], v37 offset0:64 offset1:68
	s_waitcnt lgkmcnt(1)
	v_fma_f64 v[20:21], v[20:21], v[4:5], v[30:31]
	v_fma_f64 v[28:29], v[12:13], v[4:5], v[10:11]
	ds_read2_b64 v[10:13], v37 offset0:8 offset1:12
	v_fma_f64 v[24:25], v[24:25], v[4:5], v[32:33]
	s_waitcnt lgkmcnt(1)
	v_fma_f64 v[6:7], v[6:7], v[4:5], v[2:3]
	ds_read2_b64 v[2:5], v37 offset0:48 offset1:52
	s_waitcnt lgkmcnt(1)
	v_fma_f64 v[10:11], v[10:11], v[14:15], v[34:35]
	v_fma_f64 v[30:31], v[22:23], v[14:15], v[20:21]
	ds_read2_b64 v[20:23], v37 offset0:88 offset1:92
	s_waitcnt lgkmcnt(1)
	v_fma_f64 v[2:3], v[2:3], v[14:15], v[28:29]
	;; [unrolled: 4-line block ×4, first 2 shown]
	v_fma_f64 v[2:3], v[4:5], v[16:17], v[2:3]
	s_waitcnt lgkmcnt(0)
	v_fma_f64 v[4:5], v[10:11], v[16:17], v[28:29]
	v_fma_f64 v[14:15], v[22:23], v[16:17], v[14:15]
	ds_read_b64 v[10:11], v36 offset:2048
	ds_read_b64 v[16:17], v37 offset:768
	s_waitcnt lgkmcnt(1)
	v_fma_f64 v[18:19], v[18:19], v[10:11], v[20:21]
	v_fma_f64 v[6:7], v[8:9], v[10:11], v[6:7]
	;; [unrolled: 1-line block ×4, first 2 shown]
	s_waitcnt lgkmcnt(0)
	v_fma_f64 v[8:9], v[16:17], v[10:11], v[14:15]
	v_lshl_add_u32 v10, v1, 5, v37
	ds_write2_b64 v10, v[18:19], v[6:7] offset0:126 offset1:142
	ds_write2_b64 v10, v[2:3], v[4:5] offset0:158 offset1:174
	ds_write_b64 v10, v[8:9] offset:1520
.LBB0_23:
	s_or_b64 exec, exec, s[2:3]
	s_waitcnt lgkmcnt(0)
	; wave barrier
	s_and_saveexec_b64 s[0:1], vcc
	s_cbranch_execz .LBB0_26
; %bb.24:
	v_cmp_gt_u32_e32 vcc, 4, v0
	s_and_b64 exec, exec, vcc
	s_cbranch_execz .LBB0_26
; %bb.25:
	v_lshlrev_b32_e32 v36, 5, v1
	v_lshlrev_b32_e32 v38, 3, v0
	v_add_u32_e32 v39, v36, v38
	v_mov_b32_e32 v37, 0
	ds_read2_b64 v[0:3], v39 offset0:126 offset1:142
	ds_read_b128 v[4:7], v37 offset:2016
	ds_read_b128 v[8:11], v37 offset:2096
	;; [unrolled: 1-line block ×7, first 2 shown]
	s_waitcnt lgkmcnt(6)
	v_fma_f64 v[4:5], v[0:1], v[4:5], 0
	s_waitcnt lgkmcnt(5)
	v_fma_f64 v[8:9], v[0:1], v[8:9], 0
	;; [unrolled: 2-line block ×4, first 2 shown]
	s_lshl_b64 s[0:1], s[6:7], 9
	s_add_u32 s0, s16, s0
	s_addc_u32 s1, s17, s1
	v_fma_f64 v[32:33], v[2:3], v[6:7], v[4:5]
	ds_read_b128 v[4:7], v37 offset:2112
	v_fma_f64 v[34:35], v[2:3], v[10:11], v[8:9]
	ds_read_b128 v[8:11], v37 offset:2144
	s_waitcnt lgkmcnt(2)
	v_fma_f64 v[18:19], v[2:3], v[28:29], v[18:19]
	ds_read_b128 v[26:29], v37 offset:2160
	s_waitcnt lgkmcnt(1)
	v_fma_f64 v[8:9], v[2:3], v[8:9], v[0:1]
	ds_read2_b64 v[0:3], v39 offset0:158 offset1:174
	s_waitcnt lgkmcnt(0)
	v_fma_f64 v[12:13], v[0:1], v[12:13], v[32:33]
	v_fma_f64 v[18:19], v[0:1], v[30:31], v[18:19]
	v_mov_b32_e32 v30, s1
	v_fma_f64 v[8:9], v[0:1], v[10:11], v[8:9]
	v_fma_f64 v[0:1], v[0:1], v[4:5], v[34:35]
	;; [unrolled: 1-line block ×3, first 2 shown]
	v_add_co_u32_e32 v12, vcc, s0, v36
	v_addc_co_u32_e32 v13, vcc, 0, v30, vcc
	v_add_co_u32_e32 v12, vcc, v12, v38
	v_addc_co_u32_e32 v13, vcc, 0, v13, vcc
	global_load_dwordx2 v[14:15], v[12:13], off
	global_load_dwordx2 v[30:31], v[12:13], off offset:128
	global_load_dwordx2 v[32:33], v[12:13], off offset:256
	;; [unrolled: 1-line block ×3, first 2 shown]
	v_fma_f64 v[4:5], v[2:3], v[20:21], v[18:19]
	v_fma_f64 v[0:1], v[2:3], v[6:7], v[0:1]
	;; [unrolled: 1-line block ×3, first 2 shown]
	ds_read_b64 v[6:7], v39 offset:1520
	s_waitcnt lgkmcnt(0)
	v_fma_f64 v[8:9], v[6:7], v[16:17], v[10:11]
	v_fma_f64 v[4:5], v[6:7], v[22:23], v[4:5]
	;; [unrolled: 1-line block ×4, first 2 shown]
	s_waitcnt vmcnt(3)
	v_add_f64 v[6:7], v[8:9], v[14:15]
	s_waitcnt vmcnt(2)
	v_add_f64 v[4:5], v[4:5], v[30:31]
	;; [unrolled: 2-line block ×4, first 2 shown]
	global_store_dwordx2 v[12:13], v[6:7], off
	global_store_dwordx2 v[12:13], v[4:5], off offset:128
	global_store_dwordx2 v[12:13], v[0:1], off offset:256
	;; [unrolled: 1-line block ×3, first 2 shown]
.LBB0_26:
	s_endpgm
	.section	.rodata,"a",@progbits
	.p2align	6, 0x0
	.amdhsa_kernel _ZN8rajaperf4apps8Mass3DPAILm25EEEvPdS2_S2_S2_S2_
		.amdhsa_group_segment_fixed_size 2176
		.amdhsa_private_segment_fixed_size 0
		.amdhsa_kernarg_size 40
		.amdhsa_user_sgpr_count 6
		.amdhsa_user_sgpr_private_segment_buffer 1
		.amdhsa_user_sgpr_dispatch_ptr 0
		.amdhsa_user_sgpr_queue_ptr 0
		.amdhsa_user_sgpr_kernarg_segment_ptr 1
		.amdhsa_user_sgpr_dispatch_id 0
		.amdhsa_user_sgpr_flat_scratch_init 0
		.amdhsa_user_sgpr_private_segment_size 0
		.amdhsa_uses_dynamic_stack 0
		.amdhsa_system_sgpr_private_segment_wavefront_offset 0
		.amdhsa_system_sgpr_workgroup_id_x 1
		.amdhsa_system_sgpr_workgroup_id_y 0
		.amdhsa_system_sgpr_workgroup_id_z 0
		.amdhsa_system_sgpr_workgroup_info 0
		.amdhsa_system_vgpr_workitem_id 1
		.amdhsa_next_free_vgpr 44
		.amdhsa_next_free_sgpr 61
		.amdhsa_reserve_vcc 1
		.amdhsa_reserve_flat_scratch 0
		.amdhsa_float_round_mode_32 0
		.amdhsa_float_round_mode_16_64 0
		.amdhsa_float_denorm_mode_32 3
		.amdhsa_float_denorm_mode_16_64 3
		.amdhsa_dx10_clamp 1
		.amdhsa_ieee_mode 1
		.amdhsa_fp16_overflow 0
		.amdhsa_exception_fp_ieee_invalid_op 0
		.amdhsa_exception_fp_denorm_src 0
		.amdhsa_exception_fp_ieee_div_zero 0
		.amdhsa_exception_fp_ieee_overflow 0
		.amdhsa_exception_fp_ieee_underflow 0
		.amdhsa_exception_fp_ieee_inexact 0
		.amdhsa_exception_int_div_zero 0
	.end_amdhsa_kernel
	.section	.text._ZN8rajaperf4apps8Mass3DPAILm25EEEvPdS2_S2_S2_S2_,"axG",@progbits,_ZN8rajaperf4apps8Mass3DPAILm25EEEvPdS2_S2_S2_S2_,comdat
.Lfunc_end0:
	.size	_ZN8rajaperf4apps8Mass3DPAILm25EEEvPdS2_S2_S2_S2_, .Lfunc_end0-_ZN8rajaperf4apps8Mass3DPAILm25EEEvPdS2_S2_S2_S2_
                                        ; -- End function
	.set _ZN8rajaperf4apps8Mass3DPAILm25EEEvPdS2_S2_S2_S2_.num_vgpr, 44
	.set _ZN8rajaperf4apps8Mass3DPAILm25EEEvPdS2_S2_S2_S2_.num_agpr, 0
	.set _ZN8rajaperf4apps8Mass3DPAILm25EEEvPdS2_S2_S2_S2_.numbered_sgpr, 18
	.set _ZN8rajaperf4apps8Mass3DPAILm25EEEvPdS2_S2_S2_S2_.num_named_barrier, 0
	.set _ZN8rajaperf4apps8Mass3DPAILm25EEEvPdS2_S2_S2_S2_.private_seg_size, 0
	.set _ZN8rajaperf4apps8Mass3DPAILm25EEEvPdS2_S2_S2_S2_.uses_vcc, 1
	.set _ZN8rajaperf4apps8Mass3DPAILm25EEEvPdS2_S2_S2_S2_.uses_flat_scratch, 0
	.set _ZN8rajaperf4apps8Mass3DPAILm25EEEvPdS2_S2_S2_S2_.has_dyn_sized_stack, 0
	.set _ZN8rajaperf4apps8Mass3DPAILm25EEEvPdS2_S2_S2_S2_.has_recursion, 0
	.set _ZN8rajaperf4apps8Mass3DPAILm25EEEvPdS2_S2_S2_S2_.has_indirect_call, 0
	.section	.AMDGPU.csdata,"",@progbits
; Kernel info:
; codeLenInByte = 2852
; TotalNumSgprs: 22
; NumVgprs: 44
; ScratchSize: 0
; MemoryBound: 0
; FloatMode: 240
; IeeeMode: 1
; LDSByteSize: 2176 bytes/workgroup (compile time only)
; SGPRBlocks: 8
; VGPRBlocks: 10
; NumSGPRsForWavesPerEU: 65
; NumVGPRsForWavesPerEU: 44
; Occupancy: 5
; WaveLimiterHint : 1
; COMPUTE_PGM_RSRC2:SCRATCH_EN: 0
; COMPUTE_PGM_RSRC2:USER_SGPR: 6
; COMPUTE_PGM_RSRC2:TRAP_HANDLER: 0
; COMPUTE_PGM_RSRC2:TGID_X_EN: 1
; COMPUTE_PGM_RSRC2:TGID_Y_EN: 0
; COMPUTE_PGM_RSRC2:TGID_Z_EN: 0
; COMPUTE_PGM_RSRC2:TIDIG_COMP_CNT: 1
	.section	.text._ZN4RAJA34launch_new_reduce_global_fcn_fixedIZN8rajaperf4apps8MASS3DPA17runHipVariantImplILm25EEEvNS1_9VariantIDEEUlNS_14LaunchContextTINS_3hip33LaunchContextIndicesAndDimsPolicyINS7_14IndicesAndDimsILb0ELb0ELb0ELb0EEEEEEEE_Li25ENS_4expt15ForallParamPackIJEEEEEvT_T1_,"axG",@progbits,_ZN4RAJA34launch_new_reduce_global_fcn_fixedIZN8rajaperf4apps8MASS3DPA17runHipVariantImplILm25EEEvNS1_9VariantIDEEUlNS_14LaunchContextTINS_3hip33LaunchContextIndicesAndDimsPolicyINS7_14IndicesAndDimsILb0ELb0ELb0ELb0EEEEEEEE_Li25ENS_4expt15ForallParamPackIJEEEEEvT_T1_,comdat
	.protected	_ZN4RAJA34launch_new_reduce_global_fcn_fixedIZN8rajaperf4apps8MASS3DPA17runHipVariantImplILm25EEEvNS1_9VariantIDEEUlNS_14LaunchContextTINS_3hip33LaunchContextIndicesAndDimsPolicyINS7_14IndicesAndDimsILb0ELb0ELb0ELb0EEEEEEEE_Li25ENS_4expt15ForallParamPackIJEEEEEvT_T1_ ; -- Begin function _ZN4RAJA34launch_new_reduce_global_fcn_fixedIZN8rajaperf4apps8MASS3DPA17runHipVariantImplILm25EEEvNS1_9VariantIDEEUlNS_14LaunchContextTINS_3hip33LaunchContextIndicesAndDimsPolicyINS7_14IndicesAndDimsILb0ELb0ELb0ELb0EEEEEEEE_Li25ENS_4expt15ForallParamPackIJEEEEEvT_T1_
	.globl	_ZN4RAJA34launch_new_reduce_global_fcn_fixedIZN8rajaperf4apps8MASS3DPA17runHipVariantImplILm25EEEvNS1_9VariantIDEEUlNS_14LaunchContextTINS_3hip33LaunchContextIndicesAndDimsPolicyINS7_14IndicesAndDimsILb0ELb0ELb0ELb0EEEEEEEE_Li25ENS_4expt15ForallParamPackIJEEEEEvT_T1_
	.p2align	8
	.type	_ZN4RAJA34launch_new_reduce_global_fcn_fixedIZN8rajaperf4apps8MASS3DPA17runHipVariantImplILm25EEEvNS1_9VariantIDEEUlNS_14LaunchContextTINS_3hip33LaunchContextIndicesAndDimsPolicyINS7_14IndicesAndDimsILb0ELb0ELb0ELb0EEEEEEEE_Li25ENS_4expt15ForallParamPackIJEEEEEvT_T1_,@function
_ZN4RAJA34launch_new_reduce_global_fcn_fixedIZN8rajaperf4apps8MASS3DPA17runHipVariantImplILm25EEEvNS1_9VariantIDEEUlNS_14LaunchContextTINS_3hip33LaunchContextIndicesAndDimsPolicyINS7_14IndicesAndDimsILb0ELb0ELb0ELb0EEEEEEEE_Li25ENS_4expt15ForallParamPackIJEEEEEvT_T1_: ; @_ZN4RAJA34launch_new_reduce_global_fcn_fixedIZN8rajaperf4apps8MASS3DPA17runHipVariantImplILm25EEEvNS1_9VariantIDEEUlNS_14LaunchContextTINS_3hip33LaunchContextIndicesAndDimsPolicyINS7_14IndicesAndDimsILb0ELb0ELb0ELb0EEEEEEEE_Li25ENS_4expt15ForallParamPackIJEEEEEvT_T1_
; %bb.0:
	s_load_dwordx8 s[8:15], s[4:5], 0x0
	s_mov_b32 s7, 0
	v_mov_b32_e32 v2, s6
	v_mov_b32_e32 v3, s7
	s_waitcnt lgkmcnt(0)
	v_cmp_le_i64_e32 vcc, s[8:9], v[2:3]
	s_cbranch_vccnz .LBB1_27
; %bb.1:
	s_load_dwordx4 s[16:19], s[4:5], 0x20
	v_cmp_gt_u32_e32 vcc, 4, v1
	s_and_saveexec_b64 s[2:3], vcc
	s_cbranch_execz .LBB1_6
; %bb.2:
	v_cmp_gt_u32_e64 s[0:1], 4, v0
	s_and_saveexec_b64 s[4:5], s[0:1]
	s_cbranch_execz .LBB1_4
; %bb.3:
	v_lshlrev_b32_e32 v12, 5, v1
	v_mov_b32_e32 v2, s11
	v_add_co_u32_e64 v3, s[0:1], s10, v12
	v_addc_co_u32_e64 v2, s[0:1], 0, v2, s[0:1]
	s_lshl_b64 s[0:1], s[6:7], 9
	v_mov_b32_e32 v4, s1
	v_add_co_u32_e64 v3, s[0:1], s0, v3
	v_addc_co_u32_e64 v4, s[0:1], v2, v4, s[0:1]
	v_lshlrev_b32_e32 v13, 3, v0
	v_add_co_u32_e64 v2, s[0:1], v3, v13
	v_addc_co_u32_e64 v3, s[0:1], 0, v4, s[0:1]
	global_load_dwordx2 v[4:5], v[2:3], off
	global_load_dwordx2 v[6:7], v[2:3], off offset:128
	global_load_dwordx2 v[8:9], v[2:3], off offset:256
	global_load_dwordx2 v[10:11], v[2:3], off offset:384
	v_add_u32_e32 v2, v12, v13
	s_waitcnt vmcnt(2)
	ds_write2_b64 v2, v[4:5], v[6:7] offset1:16
	s_waitcnt vmcnt(0)
	ds_write2_b64 v2, v[8:9], v[10:11] offset0:32 offset1:48
.LBB1_4:
	s_or_b64 exec, exec, s[4:5]
	v_cmp_gt_u32_e64 s[0:1], 5, v0
	s_and_b64 exec, exec, s[0:1]
	s_cbranch_execz .LBB1_6
; %bb.5:
	v_mov_b32_e32 v2, s12
	v_mov_b32_e32 v3, s13
	v_mad_u64_u32 v[2:3], s[0:1], v1, 40, v[2:3]
	v_lshlrev_b32_e32 v4, 3, v0
	v_add_co_u32_e64 v2, s[0:1], v2, v4
	v_addc_co_u32_e64 v3, s[0:1], 0, v3, s[0:1]
	global_load_dwordx2 v[2:3], v[2:3], off
	v_lshlrev_b32_e32 v4, 5, v0
	v_lshl_add_u32 v4, v1, 3, v4
	s_waitcnt vmcnt(0)
	ds_write_b64 v4, v[2:3] offset:2016
.LBB1_6:
	s_or_b64 exec, exec, s[2:3]
	s_waitcnt lgkmcnt(0)
	; wave barrier
	s_and_saveexec_b64 s[2:3], vcc
	s_cbranch_execz .LBB1_9
; %bb.7:
	v_cmp_gt_u32_e64 s[0:1], 5, v0
	s_and_b64 exec, exec, s[0:1]
	s_cbranch_execz .LBB1_9
; %bb.8:
	v_lshlrev_b32_e32 v36, 5, v1
	v_lshlrev_b32_e32 v14, 5, v0
	ds_read_b128 v[2:5], v36
	ds_read_b128 v[6:9], v14 offset:2016
	ds_read_b128 v[10:13], v36 offset:128
	;; [unrolled: 1-line block ×6, first 2 shown]
	s_waitcnt lgkmcnt(4)
	v_fma_f64 v[10:11], v[6:7], v[10:11], 0
	v_fma_f64 v[2:3], v[6:7], v[2:3], 0
	;; [unrolled: 1-line block ×3, first 2 shown]
	s_waitcnt lgkmcnt(0)
	v_fma_f64 v[10:11], v[6:7], v[26:27], 0
	v_fma_f64 v[30:31], v[8:9], v[4:5], v[2:3]
	ds_read_b128 v[2:5], v36 offset:272
	v_fma_f64 v[34:35], v[8:9], v[28:29], v[10:11]
	ds_read_b128 v[10:13], v36 offset:384
	ds_read_b128 v[26:29], v36 offset:400
	s_waitcnt lgkmcnt(1)
	v_fma_f64 v[6:7], v[6:7], v[10:11], 0
	v_fma_f64 v[10:11], v[14:15], v[22:23], v[32:33]
	;; [unrolled: 1-line block ×7, first 2 shown]
	s_waitcnt lgkmcnt(0)
	v_fma_f64 v[6:7], v[14:15], v[26:27], v[6:7]
	v_fma_f64 v[8:9], v[16:17], v[20:21], v[8:9]
	v_fma_f64 v[4:5], v[16:17], v[28:29], v[6:7]
	v_lshlrev_b32_e32 v6, 3, v0
	v_mad_u32_u24 v6, v1, 40, v6
	ds_write2_b64 v6, v[8:9], v[10:11] offset0:126 offset1:146
	ds_write2_b64 v6, v[2:3], v[4:5] offset0:166 offset1:186
.LBB1_9:
	s_or_b64 exec, exec, s[2:3]
	v_cmp_gt_u32_e64 s[0:1], 5, v1
	s_waitcnt lgkmcnt(0)
	; wave barrier
	s_and_saveexec_b64 s[4:5], s[0:1]
	s_cbranch_execz .LBB1_12
; %bb.10:
	v_cmp_gt_u32_e64 s[2:3], 5, v0
	s_and_b64 exec, exec, s[2:3]
	s_cbranch_execz .LBB1_12
; %bb.11:
	v_lshlrev_b32_e32 v10, 5, v1
	v_lshlrev_b32_e32 v30, 3, v0
	ds_read2_b64 v[2:5], v30 offset0:126 offset1:131
	ds_read_b128 v[6:9], v10 offset:2016
	ds_read_b128 v[10:13], v10 offset:2032
	ds_read2_b64 v[14:17], v30 offset0:146 offset1:151
	ds_read2_b64 v[18:21], v30 offset0:166 offset1:171
	;; [unrolled: 1-line block ×3, first 2 shown]
	s_waitcnt lgkmcnt(4)
	v_fma_f64 v[2:3], v[6:7], v[2:3], 0
	s_waitcnt lgkmcnt(2)
	v_fma_f64 v[14:15], v[6:7], v[14:15], 0
	;; [unrolled: 2-line block ×4, first 2 shown]
	v_fma_f64 v[22:23], v[8:9], v[4:5], v[2:3]
	ds_read2_b64 v[2:5], v30 offset0:136 offset1:141
	v_fma_f64 v[26:27], v[8:9], v[16:17], v[14:15]
	v_fma_f64 v[28:29], v[8:9], v[20:21], v[18:19]
	;; [unrolled: 1-line block ×3, first 2 shown]
	ds_read2_b64 v[6:9], v30 offset0:156 offset1:161
	ds_read2_b64 v[14:17], v30 offset0:176 offset1:181
	;; [unrolled: 1-line block ×3, first 2 shown]
	s_waitcnt lgkmcnt(3)
	v_fma_f64 v[2:3], v[10:11], v[2:3], v[22:23]
	s_waitcnt lgkmcnt(2)
	v_fma_f64 v[6:7], v[10:11], v[6:7], v[26:27]
	;; [unrolled: 2-line block ×4, first 2 shown]
	v_fma_f64 v[2:3], v[12:13], v[4:5], v[2:3]
	v_fma_f64 v[4:5], v[12:13], v[8:9], v[6:7]
	;; [unrolled: 1-line block ×4, first 2 shown]
	v_mad_u32_u24 v10, v1, 40, v30
	ds_write2_b64 v10, v[2:3], v[4:5] offset1:25
	ds_write2_b64 v10, v[6:7], v[8:9] offset0:50 offset1:75
.LBB1_12:
	s_or_b64 exec, exec, s[4:5]
	s_waitcnt lgkmcnt(0)
	; wave barrier
	s_and_saveexec_b64 s[4:5], s[0:1]
	s_cbranch_execz .LBB1_15
; %bb.13:
	v_cmp_gt_u32_e64 s[2:3], 5, v0
	s_and_b64 exec, exec, s[2:3]
	s_cbranch_execz .LBB1_15
; %bb.14:
	v_lshlrev_b32_e32 v38, 3, v0
	v_mad_u32_u24 v39, v1, 40, v38
	ds_read2_b64 v[2:5], v39 offset1:25
	v_mov_b32_e32 v26, 0
	ds_read_b128 v[6:9], v26 offset:2016
	ds_read_b128 v[10:13], v26 offset:2032
	;; [unrolled: 1-line block ×5, first 2 shown]
	s_waitcnt lgkmcnt(4)
	v_fma_f64 v[6:7], v[2:3], v[6:7], 0
	s_waitcnt lgkmcnt(2)
	v_fma_f64 v[14:15], v[2:3], v[14:15], 0
	;; [unrolled: 2-line block ×3, first 2 shown]
	v_fma_f64 v[30:31], v[4:5], v[8:9], v[6:7]
	ds_read_b128 v[6:9], v26 offset:2096
	v_fma_f64 v[32:33], v[4:5], v[16:17], v[14:15]
	ds_read_b128 v[14:17], v26 offset:2112
	v_fma_f64 v[34:35], v[4:5], v[20:21], v[18:19]
	ds_read_b128 v[18:21], v26 offset:2128
	s_waitcnt lgkmcnt(1)
	v_fma_f64 v[14:15], v[2:3], v[14:15], 0
	v_fma_f64 v[36:37], v[4:5], v[16:17], v[14:15]
	ds_read_b128 v[14:17], v26 offset:2144
	ds_read_b128 v[26:29], v26 offset:2160
	s_waitcnt lgkmcnt(1)
	v_fma_f64 v[2:3], v[2:3], v[14:15], 0
	v_fma_f64 v[14:15], v[4:5], v[16:17], v[2:3]
	ds_read2_b64 v[2:5], v39 offset0:50 offset1:75
	v_mov_b32_e32 v16, 0x3e8
	s_waitcnt lgkmcnt(0)
	v_fma_f64 v[10:11], v[2:3], v[10:11], v[30:31]
	v_fma_f64 v[6:7], v[2:3], v[6:7], v[34:35]
	;; [unrolled: 1-line block ×3, first 2 shown]
	v_mov_b32_e32 v12, s14
	v_mov_b32_e32 v13, s15
	v_mad_u64_u32 v[12:13], s[2:3], v1, 40, v[12:13]
	v_fma_f64 v[6:7], v[4:5], v[8:9], v[6:7]
	v_mad_u64_u32 v[12:13], s[2:3], s6, v16, v[12:13]
	v_fma_f64 v[16:17], v[2:3], v[22:23], v[32:33]
	v_add_co_u32_e64 v8, s[2:3], v12, v38
	v_addc_co_u32_e64 v9, s[2:3], 0, v13, s[2:3]
	v_fma_f64 v[16:17], v[4:5], v[24:25], v[16:17]
	global_load_dwordx2 v[12:13], v[8:9], off
	global_load_dwordx2 v[22:23], v[8:9], off offset:200
	global_load_dwordx2 v[24:25], v[8:9], off offset:400
	;; [unrolled: 1-line block ×4, first 2 shown]
	v_fma_f64 v[8:9], v[2:3], v[18:19], v[36:37]
	v_fma_f64 v[2:3], v[2:3], v[26:27], v[14:15]
	;; [unrolled: 1-line block ×4, first 2 shown]
	s_waitcnt vmcnt(4)
	v_mul_f64 v[4:5], v[10:11], v[12:13]
	s_waitcnt vmcnt(3)
	v_mul_f64 v[10:11], v[16:17], v[22:23]
	;; [unrolled: 2-line block ×5, first 2 shown]
	ds_write2_b64 v39, v[4:5], v[10:11] offset0:126 offset1:151
	ds_write2_b64 v39, v[6:7], v[8:9] offset0:176 offset1:201
	ds_write_b64 v39, v[2:3] offset:1808
.LBB1_15:
	s_or_b64 exec, exec, s[4:5]
	s_waitcnt lgkmcnt(0)
	; wave barrier
	s_and_saveexec_b64 s[4:5], vcc
	s_cbranch_execz .LBB1_18
; %bb.16:
	v_cmp_gt_u32_e64 s[2:3], 5, v0
	s_and_b64 exec, exec, s[2:3]
	s_cbranch_execz .LBB1_18
; %bb.17:
	v_lshlrev_b32_e32 v2, 5, v1
	v_mov_b32_e32 v3, s17
	v_add_co_u32_e64 v2, s[2:3], s16, v2
	v_lshlrev_b32_e32 v4, 3, v0
	v_addc_co_u32_e64 v3, s[2:3], 0, v3, s[2:3]
	v_add_co_u32_e64 v2, s[2:3], v2, v4
	v_addc_co_u32_e64 v3, s[2:3], 0, v3, s[2:3]
	global_load_dwordx2 v[2:3], v[2:3], off
	v_mad_u32_u24 v4, v1, 40, v4
	s_waitcnt vmcnt(0)
	ds_write_b64 v4, v[2:3] offset:2016
.LBB1_18:
	s_or_b64 exec, exec, s[4:5]
	s_waitcnt lgkmcnt(0)
	; wave barrier
	s_and_saveexec_b64 s[2:3], s[0:1]
	s_cbranch_execz .LBB1_21
; %bb.19:
	v_cmp_gt_u32_e64 s[0:1], 4, v0
	s_and_b64 exec, exec, s[0:1]
	s_cbranch_execz .LBB1_21
; %bb.20:
	v_mul_u32_u24_e32 v43, 40, v0
	v_mul_u32_u24_e32 v42, 40, v1
	ds_read2_b64 v[2:5], v43 offset0:252 offset1:253
	ds_read2_b64 v[6:9], v42 offset0:126 offset1:127
	;; [unrolled: 1-line block ×4, first 2 shown]
	ds_read_b64 v[34:35], v42 offset:1840
	ds_read2_b64 v[18:21], v42 offset0:153 offset1:154
	s_waitcnt lgkmcnt(4)
	v_fma_f64 v[6:7], v[2:3], v[6:7], 0
	s_waitcnt lgkmcnt(3)
	v_fma_f64 v[10:11], v[2:3], v[10:11], 0
	ds_read2_b64 v[22:25], v42 offset0:176 offset1:177
	ds_read2_b64 v[26:29], v42 offset0:201 offset1:202
	;; [unrolled: 1-line block ×3, first 2 shown]
	s_waitcnt lgkmcnt(2)
	v_fma_f64 v[22:23], v[2:3], v[22:23], 0
	s_waitcnt lgkmcnt(1)
	v_fma_f64 v[26:27], v[2:3], v[26:27], 0
	v_fma_f64 v[36:37], v[4:5], v[8:9], v[6:7]
	v_fma_f64 v[38:39], v[4:5], v[12:13], v[10:11]
	ds_read2_b64 v[6:9], v42 offset0:203 offset1:204
	ds_read2_b64 v[10:13], v42 offset0:226 offset1:227
	v_fma_f64 v[40:41], v[4:5], v[24:25], v[22:23]
	v_fma_f64 v[26:27], v[4:5], v[28:29], v[26:27]
	ds_read2_b64 v[22:25], v42 offset0:228 offset1:229
	s_waitcnt lgkmcnt(1)
	v_fma_f64 v[2:3], v[2:3], v[10:11], 0
	v_fma_f64 v[10:11], v[4:5], v[12:13], v[2:3]
	ds_read2_b64 v[2:5], v43 offset0:254 offset1:255
	ds_read_b64 v[12:13], v43 offset:2048
	s_waitcnt lgkmcnt(1)
	v_fma_f64 v[14:15], v[2:3], v[14:15], v[36:37]
	v_fma_f64 v[18:19], v[2:3], v[18:19], v[38:39]
	;; [unrolled: 1-line block ×10, first 2 shown]
	ds_read2_b64 v[6:9], v42 offset0:130 offset1:155
	ds_read2_b64 v[2:5], v42 offset0:180 offset1:205
	s_waitcnt lgkmcnt(1)
	v_fma_f64 v[6:7], v[12:13], v[6:7], v[10:11]
	v_fma_f64 v[8:9], v[12:13], v[8:9], v[14:15]
	s_waitcnt lgkmcnt(0)
	v_fma_f64 v[2:3], v[12:13], v[2:3], v[16:17]
	v_fma_f64 v[4:5], v[12:13], v[4:5], v[18:19]
	;; [unrolled: 1-line block ×3, first 2 shown]
	v_lshlrev_b32_e32 v12, 3, v0
	v_lshl_add_u32 v12, v1, 5, v12
	ds_write2_b64 v12, v[6:7], v[8:9] offset1:20
	ds_write2_b64 v12, v[2:3], v[4:5] offset0:40 offset1:60
	ds_write_b64 v12, v[10:11] offset:640
.LBB1_21:
	s_or_b64 exec, exec, s[2:3]
	s_waitcnt lgkmcnt(0)
	; wave barrier
	s_and_saveexec_b64 s[2:3], vcc
	s_cbranch_execz .LBB1_24
; %bb.22:
	v_cmp_gt_u32_e64 s[0:1], 4, v0
	s_and_b64 exec, exec, s[0:1]
	s_cbranch_execz .LBB1_24
; %bb.23:
	v_mul_u32_u24_e32 v36, 40, v1
	v_lshlrev_b32_e32 v37, 3, v0
	ds_read2_b64 v[2:5], v36 offset0:252 offset1:253
	ds_read2_b64 v[6:9], v37 offset1:4
	ds_read2_b64 v[10:13], v37 offset0:40 offset1:44
	ds_read2_b64 v[14:17], v36 offset0:254 offset1:255
	;; [unrolled: 1-line block ×5, first 2 shown]
	s_waitcnt lgkmcnt(5)
	v_fma_f64 v[6:7], v[2:3], v[6:7], 0
	s_waitcnt lgkmcnt(4)
	v_fma_f64 v[10:11], v[2:3], v[10:11], 0
	;; [unrolled: 2-line block ×4, first 2 shown]
	ds_read2_b64 v[20:23], v37 offset0:24 offset1:28
	s_waitcnt lgkmcnt(1)
	v_fma_f64 v[2:3], v[2:3], v[28:29], 0
	v_fma_f64 v[34:35], v[4:5], v[8:9], v[6:7]
	ds_read2_b64 v[6:9], v37 offset0:64 offset1:68
	s_waitcnt lgkmcnt(1)
	v_fma_f64 v[20:21], v[4:5], v[20:21], v[30:31]
	v_fma_f64 v[28:29], v[4:5], v[12:13], v[10:11]
	ds_read2_b64 v[10:13], v37 offset0:8 offset1:12
	v_fma_f64 v[24:25], v[4:5], v[24:25], v[32:33]
	s_waitcnt lgkmcnt(1)
	v_fma_f64 v[6:7], v[4:5], v[6:7], v[2:3]
	ds_read2_b64 v[2:5], v37 offset0:48 offset1:52
	s_waitcnt lgkmcnt(1)
	v_fma_f64 v[10:11], v[14:15], v[10:11], v[34:35]
	v_fma_f64 v[30:31], v[14:15], v[22:23], v[20:21]
	ds_read2_b64 v[20:23], v37 offset0:88 offset1:92
	s_waitcnt lgkmcnt(1)
	v_fma_f64 v[2:3], v[14:15], v[2:3], v[28:29]
	;; [unrolled: 4-line block ×4, first 2 shown]
	v_fma_f64 v[2:3], v[16:17], v[4:5], v[2:3]
	s_waitcnt lgkmcnt(0)
	v_fma_f64 v[4:5], v[16:17], v[10:11], v[28:29]
	v_fma_f64 v[14:15], v[16:17], v[22:23], v[14:15]
	ds_read_b64 v[10:11], v36 offset:2048
	ds_read_b64 v[16:17], v37 offset:768
	s_waitcnt lgkmcnt(1)
	v_fma_f64 v[18:19], v[10:11], v[18:19], v[20:21]
	v_fma_f64 v[6:7], v[10:11], v[8:9], v[6:7]
	v_fma_f64 v[2:3], v[10:11], v[26:27], v[2:3]
	v_fma_f64 v[4:5], v[10:11], v[12:13], v[4:5]
	s_waitcnt lgkmcnt(0)
	v_fma_f64 v[8:9], v[10:11], v[16:17], v[14:15]
	v_lshl_add_u32 v10, v1, 5, v37
	ds_write2_b64 v10, v[18:19], v[6:7] offset0:126 offset1:142
	ds_write2_b64 v10, v[2:3], v[4:5] offset0:158 offset1:174
	ds_write_b64 v10, v[8:9] offset:1520
.LBB1_24:
	s_or_b64 exec, exec, s[2:3]
	s_waitcnt lgkmcnt(0)
	; wave barrier
	s_and_saveexec_b64 s[0:1], vcc
	s_cbranch_execz .LBB1_27
; %bb.25:
	v_cmp_gt_u32_e32 vcc, 4, v0
	s_and_b64 exec, exec, vcc
	s_cbranch_execz .LBB1_27
; %bb.26:
	v_lshlrev_b32_e32 v36, 5, v1
	v_lshlrev_b32_e32 v37, 3, v0
	v_add_u32_e32 v38, v36, v37
	v_mov_b32_e32 v39, 0
	ds_read2_b64 v[0:3], v38 offset0:126 offset1:142
	ds_read_b128 v[4:7], v39 offset:2016
	ds_read_b128 v[8:11], v39 offset:2096
	ds_read_b128 v[12:15], v39 offset:2032
	ds_read_b128 v[16:19], v39 offset:2048
	ds_read_b128 v[20:23], v39 offset:2080
	ds_read_b128 v[24:27], v39 offset:2128
	ds_read_b128 v[28:31], v39 offset:2064
	s_waitcnt lgkmcnt(6)
	v_fma_f64 v[4:5], v[0:1], v[4:5], 0
	s_waitcnt lgkmcnt(5)
	v_fma_f64 v[8:9], v[0:1], v[8:9], 0
	;; [unrolled: 2-line block ×4, first 2 shown]
	s_lshl_b64 s[0:1], s[6:7], 9
	v_fma_f64 v[32:33], v[2:3], v[6:7], v[4:5]
	ds_read_b128 v[4:7], v39 offset:2112
	v_fma_f64 v[34:35], v[2:3], v[10:11], v[8:9]
	ds_read_b128 v[8:11], v39 offset:2144
	s_waitcnt lgkmcnt(2)
	v_fma_f64 v[18:19], v[2:3], v[28:29], v[18:19]
	ds_read_b128 v[26:29], v39 offset:2160
	s_waitcnt lgkmcnt(1)
	v_fma_f64 v[8:9], v[2:3], v[8:9], v[0:1]
	ds_read2_b64 v[0:3], v38 offset0:158 offset1:174
	s_waitcnt lgkmcnt(0)
	v_fma_f64 v[12:13], v[0:1], v[12:13], v[32:33]
	v_fma_f64 v[18:19], v[0:1], v[30:31], v[18:19]
	v_mov_b32_e32 v30, s19
	v_fma_f64 v[8:9], v[0:1], v[10:11], v[8:9]
	v_fma_f64 v[0:1], v[0:1], v[4:5], v[34:35]
	;; [unrolled: 1-line block ×3, first 2 shown]
	v_add_co_u32_e32 v12, vcc, s18, v36
	v_addc_co_u32_e32 v13, vcc, 0, v30, vcc
	v_mov_b32_e32 v14, s1
	v_add_co_u32_e32 v12, vcc, s0, v12
	v_addc_co_u32_e32 v13, vcc, v13, v14, vcc
	v_add_co_u32_e32 v12, vcc, v12, v37
	v_addc_co_u32_e32 v13, vcc, 0, v13, vcc
	global_load_dwordx2 v[14:15], v[12:13], off
	global_load_dwordx2 v[30:31], v[12:13], off offset:128
	global_load_dwordx2 v[32:33], v[12:13], off offset:256
	;; [unrolled: 1-line block ×3, first 2 shown]
	v_fma_f64 v[4:5], v[2:3], v[20:21], v[18:19]
	v_fma_f64 v[0:1], v[2:3], v[6:7], v[0:1]
	;; [unrolled: 1-line block ×3, first 2 shown]
	ds_read_b64 v[6:7], v38 offset:1520
	s_waitcnt lgkmcnt(0)
	v_fma_f64 v[8:9], v[6:7], v[16:17], v[10:11]
	v_fma_f64 v[4:5], v[6:7], v[22:23], v[4:5]
	;; [unrolled: 1-line block ×4, first 2 shown]
	s_waitcnt vmcnt(3)
	v_add_f64 v[6:7], v[8:9], v[14:15]
	s_waitcnt vmcnt(2)
	v_add_f64 v[4:5], v[4:5], v[30:31]
	;; [unrolled: 2-line block ×4, first 2 shown]
	global_store_dwordx2 v[12:13], v[6:7], off
	global_store_dwordx2 v[12:13], v[4:5], off offset:128
	global_store_dwordx2 v[12:13], v[0:1], off offset:256
	;; [unrolled: 1-line block ×3, first 2 shown]
.LBB1_27:
	s_endpgm
	.section	.rodata,"a",@progbits
	.p2align	6, 0x0
	.amdhsa_kernel _ZN4RAJA34launch_new_reduce_global_fcn_fixedIZN8rajaperf4apps8MASS3DPA17runHipVariantImplILm25EEEvNS1_9VariantIDEEUlNS_14LaunchContextTINS_3hip33LaunchContextIndicesAndDimsPolicyINS7_14IndicesAndDimsILb0ELb0ELb0ELb0EEEEEEEE_Li25ENS_4expt15ForallParamPackIJEEEEEvT_T1_
		.amdhsa_group_segment_fixed_size 2176
		.amdhsa_private_segment_fixed_size 0
		.amdhsa_kernarg_size 52
		.amdhsa_user_sgpr_count 6
		.amdhsa_user_sgpr_private_segment_buffer 1
		.amdhsa_user_sgpr_dispatch_ptr 0
		.amdhsa_user_sgpr_queue_ptr 0
		.amdhsa_user_sgpr_kernarg_segment_ptr 1
		.amdhsa_user_sgpr_dispatch_id 0
		.amdhsa_user_sgpr_flat_scratch_init 0
		.amdhsa_user_sgpr_private_segment_size 0
		.amdhsa_uses_dynamic_stack 0
		.amdhsa_system_sgpr_private_segment_wavefront_offset 0
		.amdhsa_system_sgpr_workgroup_id_x 1
		.amdhsa_system_sgpr_workgroup_id_y 0
		.amdhsa_system_sgpr_workgroup_id_z 0
		.amdhsa_system_sgpr_workgroup_info 0
		.amdhsa_system_vgpr_workitem_id 1
		.amdhsa_next_free_vgpr 44
		.amdhsa_next_free_sgpr 61
		.amdhsa_reserve_vcc 1
		.amdhsa_reserve_flat_scratch 0
		.amdhsa_float_round_mode_32 0
		.amdhsa_float_round_mode_16_64 0
		.amdhsa_float_denorm_mode_32 3
		.amdhsa_float_denorm_mode_16_64 3
		.amdhsa_dx10_clamp 1
		.amdhsa_ieee_mode 1
		.amdhsa_fp16_overflow 0
		.amdhsa_exception_fp_ieee_invalid_op 0
		.amdhsa_exception_fp_denorm_src 0
		.amdhsa_exception_fp_ieee_div_zero 0
		.amdhsa_exception_fp_ieee_overflow 0
		.amdhsa_exception_fp_ieee_underflow 0
		.amdhsa_exception_fp_ieee_inexact 0
		.amdhsa_exception_int_div_zero 0
	.end_amdhsa_kernel
	.section	.text._ZN4RAJA34launch_new_reduce_global_fcn_fixedIZN8rajaperf4apps8MASS3DPA17runHipVariantImplILm25EEEvNS1_9VariantIDEEUlNS_14LaunchContextTINS_3hip33LaunchContextIndicesAndDimsPolicyINS7_14IndicesAndDimsILb0ELb0ELb0ELb0EEEEEEEE_Li25ENS_4expt15ForallParamPackIJEEEEEvT_T1_,"axG",@progbits,_ZN4RAJA34launch_new_reduce_global_fcn_fixedIZN8rajaperf4apps8MASS3DPA17runHipVariantImplILm25EEEvNS1_9VariantIDEEUlNS_14LaunchContextTINS_3hip33LaunchContextIndicesAndDimsPolicyINS7_14IndicesAndDimsILb0ELb0ELb0ELb0EEEEEEEE_Li25ENS_4expt15ForallParamPackIJEEEEEvT_T1_,comdat
.Lfunc_end1:
	.size	_ZN4RAJA34launch_new_reduce_global_fcn_fixedIZN8rajaperf4apps8MASS3DPA17runHipVariantImplILm25EEEvNS1_9VariantIDEEUlNS_14LaunchContextTINS_3hip33LaunchContextIndicesAndDimsPolicyINS7_14IndicesAndDimsILb0ELb0ELb0ELb0EEEEEEEE_Li25ENS_4expt15ForallParamPackIJEEEEEvT_T1_, .Lfunc_end1-_ZN4RAJA34launch_new_reduce_global_fcn_fixedIZN8rajaperf4apps8MASS3DPA17runHipVariantImplILm25EEEvNS1_9VariantIDEEUlNS_14LaunchContextTINS_3hip33LaunchContextIndicesAndDimsPolicyINS7_14IndicesAndDimsILb0ELb0ELb0ELb0EEEEEEEE_Li25ENS_4expt15ForallParamPackIJEEEEEvT_T1_
                                        ; -- End function
	.set _ZN4RAJA34launch_new_reduce_global_fcn_fixedIZN8rajaperf4apps8MASS3DPA17runHipVariantImplILm25EEEvNS1_9VariantIDEEUlNS_14LaunchContextTINS_3hip33LaunchContextIndicesAndDimsPolicyINS7_14IndicesAndDimsILb0ELb0ELb0ELb0EEEEEEEE_Li25ENS_4expt15ForallParamPackIJEEEEEvT_T1_.num_vgpr, 44
	.set _ZN4RAJA34launch_new_reduce_global_fcn_fixedIZN8rajaperf4apps8MASS3DPA17runHipVariantImplILm25EEEvNS1_9VariantIDEEUlNS_14LaunchContextTINS_3hip33LaunchContextIndicesAndDimsPolicyINS7_14IndicesAndDimsILb0ELb0ELb0ELb0EEEEEEEE_Li25ENS_4expt15ForallParamPackIJEEEEEvT_T1_.num_agpr, 0
	.set _ZN4RAJA34launch_new_reduce_global_fcn_fixedIZN8rajaperf4apps8MASS3DPA17runHipVariantImplILm25EEEvNS1_9VariantIDEEUlNS_14LaunchContextTINS_3hip33LaunchContextIndicesAndDimsPolicyINS7_14IndicesAndDimsILb0ELb0ELb0ELb0EEEEEEEE_Li25ENS_4expt15ForallParamPackIJEEEEEvT_T1_.numbered_sgpr, 20
	.set _ZN4RAJA34launch_new_reduce_global_fcn_fixedIZN8rajaperf4apps8MASS3DPA17runHipVariantImplILm25EEEvNS1_9VariantIDEEUlNS_14LaunchContextTINS_3hip33LaunchContextIndicesAndDimsPolicyINS7_14IndicesAndDimsILb0ELb0ELb0ELb0EEEEEEEE_Li25ENS_4expt15ForallParamPackIJEEEEEvT_T1_.num_named_barrier, 0
	.set _ZN4RAJA34launch_new_reduce_global_fcn_fixedIZN8rajaperf4apps8MASS3DPA17runHipVariantImplILm25EEEvNS1_9VariantIDEEUlNS_14LaunchContextTINS_3hip33LaunchContextIndicesAndDimsPolicyINS7_14IndicesAndDimsILb0ELb0ELb0ELb0EEEEEEEE_Li25ENS_4expt15ForallParamPackIJEEEEEvT_T1_.private_seg_size, 0
	.set _ZN4RAJA34launch_new_reduce_global_fcn_fixedIZN8rajaperf4apps8MASS3DPA17runHipVariantImplILm25EEEvNS1_9VariantIDEEUlNS_14LaunchContextTINS_3hip33LaunchContextIndicesAndDimsPolicyINS7_14IndicesAndDimsILb0ELb0ELb0ELb0EEEEEEEE_Li25ENS_4expt15ForallParamPackIJEEEEEvT_T1_.uses_vcc, 1
	.set _ZN4RAJA34launch_new_reduce_global_fcn_fixedIZN8rajaperf4apps8MASS3DPA17runHipVariantImplILm25EEEvNS1_9VariantIDEEUlNS_14LaunchContextTINS_3hip33LaunchContextIndicesAndDimsPolicyINS7_14IndicesAndDimsILb0ELb0ELb0ELb0EEEEEEEE_Li25ENS_4expt15ForallParamPackIJEEEEEvT_T1_.uses_flat_scratch, 0
	.set _ZN4RAJA34launch_new_reduce_global_fcn_fixedIZN8rajaperf4apps8MASS3DPA17runHipVariantImplILm25EEEvNS1_9VariantIDEEUlNS_14LaunchContextTINS_3hip33LaunchContextIndicesAndDimsPolicyINS7_14IndicesAndDimsILb0ELb0ELb0ELb0EEEEEEEE_Li25ENS_4expt15ForallParamPackIJEEEEEvT_T1_.has_dyn_sized_stack, 0
	.set _ZN4RAJA34launch_new_reduce_global_fcn_fixedIZN8rajaperf4apps8MASS3DPA17runHipVariantImplILm25EEEvNS1_9VariantIDEEUlNS_14LaunchContextTINS_3hip33LaunchContextIndicesAndDimsPolicyINS7_14IndicesAndDimsILb0ELb0ELb0ELb0EEEEEEEE_Li25ENS_4expt15ForallParamPackIJEEEEEvT_T1_.has_recursion, 0
	.set _ZN4RAJA34launch_new_reduce_global_fcn_fixedIZN8rajaperf4apps8MASS3DPA17runHipVariantImplILm25EEEvNS1_9VariantIDEEUlNS_14LaunchContextTINS_3hip33LaunchContextIndicesAndDimsPolicyINS7_14IndicesAndDimsILb0ELb0ELb0ELb0EEEEEEEE_Li25ENS_4expt15ForallParamPackIJEEEEEvT_T1_.has_indirect_call, 0
	.section	.AMDGPU.csdata,"",@progbits
; Kernel info:
; codeLenInByte = 2876
; TotalNumSgprs: 24
; NumVgprs: 44
; ScratchSize: 0
; MemoryBound: 0
; FloatMode: 240
; IeeeMode: 1
; LDSByteSize: 2176 bytes/workgroup (compile time only)
; SGPRBlocks: 8
; VGPRBlocks: 10
; NumSGPRsForWavesPerEU: 65
; NumVGPRsForWavesPerEU: 44
; Occupancy: 5
; WaveLimiterHint : 1
; COMPUTE_PGM_RSRC2:SCRATCH_EN: 0
; COMPUTE_PGM_RSRC2:USER_SGPR: 6
; COMPUTE_PGM_RSRC2:TRAP_HANDLER: 0
; COMPUTE_PGM_RSRC2:TGID_X_EN: 1
; COMPUTE_PGM_RSRC2:TGID_Y_EN: 0
; COMPUTE_PGM_RSRC2:TGID_Z_EN: 0
; COMPUTE_PGM_RSRC2:TIDIG_COMP_CNT: 1
	.section	.AMDGPU.gpr_maximums,"",@progbits
	.set amdgpu.max_num_vgpr, 0
	.set amdgpu.max_num_agpr, 0
	.set amdgpu.max_num_sgpr, 0
	.section	.AMDGPU.csdata,"",@progbits
	.type	__hip_cuid_87734d06cf1e6943,@object ; @__hip_cuid_87734d06cf1e6943
	.section	.bss,"aw",@nobits
	.globl	__hip_cuid_87734d06cf1e6943
__hip_cuid_87734d06cf1e6943:
	.byte	0                               ; 0x0
	.size	__hip_cuid_87734d06cf1e6943, 1

	.ident	"AMD clang version 22.0.0git (https://github.com/RadeonOpenCompute/llvm-project roc-7.2.4 26084 f58b06dce1f9c15707c5f808fd002e18c2accf7e)"
	.section	".note.GNU-stack","",@progbits
	.addrsig
	.addrsig_sym __hip_cuid_87734d06cf1e6943
	.amdgpu_metadata
---
amdhsa.kernels:
  - .args:
      - .address_space:  global
        .offset:         0
        .size:           8
        .value_kind:     global_buffer
      - .address_space:  global
        .offset:         8
        .size:           8
        .value_kind:     global_buffer
      - .address_space:  global
        .offset:         16
        .size:           8
        .value_kind:     global_buffer
      - .address_space:  global
        .offset:         24
        .size:           8
        .value_kind:     global_buffer
      - .address_space:  global
        .offset:         32
        .size:           8
        .value_kind:     global_buffer
    .group_segment_fixed_size: 2176
    .kernarg_segment_align: 8
    .kernarg_segment_size: 40
    .language:       OpenCL C
    .language_version:
      - 2
      - 0
    .max_flat_workgroup_size: 25
    .name:           _ZN8rajaperf4apps8Mass3DPAILm25EEEvPdS2_S2_S2_S2_
    .private_segment_fixed_size: 0
    .sgpr_count:     22
    .sgpr_spill_count: 0
    .symbol:         _ZN8rajaperf4apps8Mass3DPAILm25EEEvPdS2_S2_S2_S2_.kd
    .uniform_work_group_size: 1
    .uses_dynamic_stack: false
    .vgpr_count:     44
    .vgpr_spill_count: 0
    .wavefront_size: 64
  - .args:
      - .offset:         0
        .size:           48
        .value_kind:     by_value
      - .offset:         48
        .size:           1
        .value_kind:     by_value
    .group_segment_fixed_size: 2176
    .kernarg_segment_align: 8
    .kernarg_segment_size: 52
    .language:       OpenCL C
    .language_version:
      - 2
      - 0
    .max_flat_workgroup_size: 25
    .name:           _ZN4RAJA34launch_new_reduce_global_fcn_fixedIZN8rajaperf4apps8MASS3DPA17runHipVariantImplILm25EEEvNS1_9VariantIDEEUlNS_14LaunchContextTINS_3hip33LaunchContextIndicesAndDimsPolicyINS7_14IndicesAndDimsILb0ELb0ELb0ELb0EEEEEEEE_Li25ENS_4expt15ForallParamPackIJEEEEEvT_T1_
    .private_segment_fixed_size: 0
    .sgpr_count:     24
    .sgpr_spill_count: 0
    .symbol:         _ZN4RAJA34launch_new_reduce_global_fcn_fixedIZN8rajaperf4apps8MASS3DPA17runHipVariantImplILm25EEEvNS1_9VariantIDEEUlNS_14LaunchContextTINS_3hip33LaunchContextIndicesAndDimsPolicyINS7_14IndicesAndDimsILb0ELb0ELb0ELb0EEEEEEEE_Li25ENS_4expt15ForallParamPackIJEEEEEvT_T1_.kd
    .uniform_work_group_size: 1
    .uses_dynamic_stack: false
    .vgpr_count:     44
    .vgpr_spill_count: 0
    .wavefront_size: 64
amdhsa.target:   amdgcn-amd-amdhsa--gfx906
amdhsa.version:
  - 1
  - 2
...

	.end_amdgpu_metadata
